;; amdgpu-corpus repo=zjin-lcf/HeCBench kind=compiled arch=gfx1250 opt=O3
	.amdgcn_target "amdgcn-amd-amdhsa--gfx1250"
	.amdhsa_code_object_version 6
	.section	.text._Z13surfel_renderIfEvPKT_iS0_iiPS0_,"axG",@progbits,_Z13surfel_renderIfEvPKT_iS0_iiPS0_,comdat
	.protected	_Z13surfel_renderIfEvPKT_iS0_iiPS0_ ; -- Begin function _Z13surfel_renderIfEvPKT_iS0_iiPS0_
	.globl	_Z13surfel_renderIfEvPKT_iS0_iiPS0_
	.p2align	8
	.type	_Z13surfel_renderIfEvPKT_iS0_iiPS0_,@function
_Z13surfel_renderIfEvPKT_iS0_iiPS0_:    ; @_Z13surfel_renderIfEvPKT_iS0_iiPS0_
; %bb.0:
	s_clause 0x1
	s_load_b32 s2, s[0:1], 0x2c
	s_load_b128 s[4:7], s[0:1], 0x8
	s_bfe_u32 s8, ttmp6, 0x4000c
	s_bfe_u32 s9, ttmp6, 0x40010
	s_add_co_i32 s8, s8, 1
	s_add_co_i32 s9, s9, 1
	s_and_b32 s3, ttmp6, 15
	s_bfe_u32 s10, ttmp6, 0x40004
	s_mul_i32 s8, ttmp9, s8
	s_mul_i32 s9, ttmp7, s9
	s_getreg_b32 s11, hwreg(HW_REG_IB_STS2, 6, 4)
	v_and_b32_e32 v1, 0x3ff, v0
	v_bfe_u32 v0, v0, 10, 10
	s_add_co_i32 s3, s3, s8
	s_add_co_i32 s10, s10, s9
	s_wait_kmcnt 0x0
	s_lshr_b32 s8, s2, 16
	s_and_b32 s2, s2, 0xffff
	s_cmp_eq_u32 s11, 0
	s_cselect_b32 s3, ttmp9, s3
	s_cselect_b32 s9, ttmp7, s10
	v_mad_u32 v8, s3, s2, v1
	v_mad_u32 v9, s9, s8, v0
	s_delay_alu instid0(VALU_DEP_2) | instskip(NEXT) | instid1(VALU_DEP_2)
	v_cmp_gt_i32_e32 vcc_lo, s6, v8
	v_cmp_gt_i32_e64 s2, s7, v9
	s_and_b32 s2, vcc_lo, s2
	s_delay_alu instid0(SALU_CYCLE_1)
	s_and_saveexec_b32 s3, s2
	s_cbranch_execz .LBB0_6
; %bb.1:
	s_load_b64 s[2:3], s[0:1], 0x18
	s_cmp_lt_i32 s4, 1
	s_cbranch_scc1 .LBB0_4
; %bb.2:
	s_wait_xcnt 0x0
	s_load_b64 s[0:1], s[0:1], 0x0
	s_add_co_i32 s8, s6, -1
	v_cvt_f32_i32_e32 v1, v8
	s_cvt_f32_i32 s8, s8
	s_add_co_i32 s7, s7, -1
	v_cvt_f32_i32_e32 v3, v9
	s_cvt_f32_i32 s7, s7
	v_fmac_f32_e64 v1, s8, -0.5
	v_dual_mov_b32 v5, s5 :: v_dual_mov_b32 v6, s5
	s_delay_alu instid0(VALU_DEP_3) | instid1(SALU_CYCLE_1)
	v_fmac_f32_e64 v3, s7, -0.5
	s_delay_alu instid0(VALU_DEP_3)
	v_dual_mov_b32 v10, 0x60ad78ec :: v_dual_mov_b32 v7, v1
	s_wait_kmcnt 0x0
	s_add_nc_u64 s[8:9], s[0:1], 12
.LBB0_3:                                ; =>This Inner Loop Header: Depth=1
	s_delay_alu instid0(SALU_CYCLE_1)
	s_add_nc_u64 s[0:1], s[8:9], -12
	s_add_co_i32 s4, s4, -1
	s_clause 0x1
	s_load_b128 s[12:15], s[0:1], 0x0
	s_load_b96 s[16:18], s[8:9], 0x4
	s_wait_xcnt 0x0
	s_add_nc_u64 s[8:9], s[8:9], 28
	s_wait_kmcnt 0x0
	v_dual_mov_b32 v2, s13 :: v_dual_mov_b32 v0, s12
	s_mov_b32 s0, s15
	v_mov_b64_e32 v[14:15], s[16:17]
	v_mov_b32_e32 v4, s14
	s_delay_alu instid0(VALU_DEP_3) | instskip(NEXT) | instid1(VALU_DEP_1)
	v_pk_mul_f32 v[12:13], v[2:3], s[16:17] op_sel_hi:[1,0]
	v_pk_fma_f32 v[12:13], v[0:1], s[0:1], v[12:13] op_sel_hi:[1,0,1]
	s_delay_alu instid0(VALU_DEP_1) | instskip(NEXT) | instid1(VALU_DEP_1)
	v_pk_fma_f32 v[12:13], v[4:5], v[14:15], v[12:13] op_sel:[0,1,0]
	v_div_scale_f32 v0, null, v13, v13, v12
	v_div_scale_f32 v14, vcc_lo, v12, v13, v12
	s_delay_alu instid0(VALU_DEP_2) | instskip(SKIP_1) | instid1(TRANS32_DEP_1)
	v_rcp_f32_e32 v2, v0
	v_nop
	v_fma_f32 v11, -v0, v2, 1.0
	s_delay_alu instid0(VALU_DEP_1) | instskip(NEXT) | instid1(VALU_DEP_1)
	v_fmac_f32_e32 v2, v11, v2
	v_mul_f32_e32 v11, v14, v2
	s_delay_alu instid0(VALU_DEP_1) | instskip(NEXT) | instid1(VALU_DEP_1)
	v_fma_f32 v15, -v0, v11, v14
	v_dual_fmac_f32 v11, v15, v2 :: v_dual_mov_b32 v15, s12
	s_delay_alu instid0(VALU_DEP_1) | instskip(NEXT) | instid1(VALU_DEP_1)
	v_dual_fma_f32 v0, -v0, v11, v14 :: v_dual_mov_b32 v14, s14
	v_div_fmas_f32 v0, v0, v2, v11
	s_delay_alu instid0(VALU_DEP_1) | instskip(NEXT) | instid1(VALU_DEP_1)
	v_div_fixup_f32 v0, v0, v13, v12
	v_pk_fma_f32 v[12:13], v[6:7], v[0:1], v[14:15] op_sel_hi:[1,0,1] neg_lo:[0,0,1] neg_hi:[0,0,1]
	v_fma_f32 v2, v3, v0, -s13
	v_pk_mul_f32 v[14:15], v[6:7], v[0:1] op_sel_hi:[1,0]
	s_delay_alu instid0(VALU_DEP_3) | instskip(NEXT) | instid1(VALU_DEP_2)
	v_pk_mul_f32 v[12:13], v[12:13], v[12:13]
	v_cmp_gt_f32_e32 vcc_lo, v10, v14
	s_delay_alu instid0(VALU_DEP_2) | instskip(NEXT) | instid1(VALU_DEP_1)
	v_fma_f32 v2, v2, v2, v13
	v_add_f32_e32 v0, v12, v2
	s_delay_alu instid0(VALU_DEP_1)
	v_cmp_gt_f32_e64 s0, s18, v0
	s_and_b32 vcc_lo, s0, vcc_lo
	s_cmp_eq_u32 s4, 0
	v_cndmask_b32_e32 v10, v10, v14, vcc_lo
	s_cbranch_scc0 .LBB0_3
	s_branch .LBB0_5
.LBB0_4:
	v_mov_b32_e32 v10, 0x60ad78ec
.LBB0_5:
	v_mad_u32 v0, v9, s6, v8
	s_delay_alu instid0(VALU_DEP_2)
	v_cmp_nlt_f32_e32 vcc_lo, 0x42c80000, v10
	v_cndmask_b32_e32 v1, 0, v10, vcc_lo
	s_wait_kmcnt 0x0
	global_store_b32 v0, v1, s[2:3] scale_offset
.LBB0_6:
	s_endpgm
	.section	.rodata,"a",@progbits
	.p2align	6, 0x0
	.amdhsa_kernel _Z13surfel_renderIfEvPKT_iS0_iiPS0_
		.amdhsa_group_segment_fixed_size 0
		.amdhsa_private_segment_fixed_size 0
		.amdhsa_kernarg_size 288
		.amdhsa_user_sgpr_count 2
		.amdhsa_user_sgpr_dispatch_ptr 0
		.amdhsa_user_sgpr_queue_ptr 0
		.amdhsa_user_sgpr_kernarg_segment_ptr 1
		.amdhsa_user_sgpr_dispatch_id 0
		.amdhsa_user_sgpr_kernarg_preload_length 0
		.amdhsa_user_sgpr_kernarg_preload_offset 0
		.amdhsa_user_sgpr_private_segment_size 0
		.amdhsa_wavefront_size32 1
		.amdhsa_uses_dynamic_stack 0
		.amdhsa_enable_private_segment 0
		.amdhsa_system_sgpr_workgroup_id_x 1
		.amdhsa_system_sgpr_workgroup_id_y 1
		.amdhsa_system_sgpr_workgroup_id_z 0
		.amdhsa_system_sgpr_workgroup_info 0
		.amdhsa_system_vgpr_workitem_id 1
		.amdhsa_next_free_vgpr 16
		.amdhsa_next_free_sgpr 19
		.amdhsa_named_barrier_count 0
		.amdhsa_reserve_vcc 1
		.amdhsa_float_round_mode_32 0
		.amdhsa_float_round_mode_16_64 0
		.amdhsa_float_denorm_mode_32 3
		.amdhsa_float_denorm_mode_16_64 3
		.amdhsa_fp16_overflow 0
		.amdhsa_memory_ordered 1
		.amdhsa_forward_progress 1
		.amdhsa_inst_pref_size 5
		.amdhsa_round_robin_scheduling 0
		.amdhsa_exception_fp_ieee_invalid_op 0
		.amdhsa_exception_fp_denorm_src 0
		.amdhsa_exception_fp_ieee_div_zero 0
		.amdhsa_exception_fp_ieee_overflow 0
		.amdhsa_exception_fp_ieee_underflow 0
		.amdhsa_exception_fp_ieee_inexact 0
		.amdhsa_exception_int_div_zero 0
	.end_amdhsa_kernel
	.section	.text._Z13surfel_renderIfEvPKT_iS0_iiPS0_,"axG",@progbits,_Z13surfel_renderIfEvPKT_iS0_iiPS0_,comdat
.Lfunc_end0:
	.size	_Z13surfel_renderIfEvPKT_iS0_iiPS0_, .Lfunc_end0-_Z13surfel_renderIfEvPKT_iS0_iiPS0_
                                        ; -- End function
	.set _Z13surfel_renderIfEvPKT_iS0_iiPS0_.num_vgpr, 16
	.set _Z13surfel_renderIfEvPKT_iS0_iiPS0_.num_agpr, 0
	.set _Z13surfel_renderIfEvPKT_iS0_iiPS0_.numbered_sgpr, 19
	.set _Z13surfel_renderIfEvPKT_iS0_iiPS0_.num_named_barrier, 0
	.set _Z13surfel_renderIfEvPKT_iS0_iiPS0_.private_seg_size, 0
	.set _Z13surfel_renderIfEvPKT_iS0_iiPS0_.uses_vcc, 1
	.set _Z13surfel_renderIfEvPKT_iS0_iiPS0_.uses_flat_scratch, 0
	.set _Z13surfel_renderIfEvPKT_iS0_iiPS0_.has_dyn_sized_stack, 0
	.set _Z13surfel_renderIfEvPKT_iS0_iiPS0_.has_recursion, 0
	.set _Z13surfel_renderIfEvPKT_iS0_iiPS0_.has_indirect_call, 0
	.section	.AMDGPU.csdata,"",@progbits
; Kernel info:
; codeLenInByte = 620
; TotalNumSgprs: 21
; NumVgprs: 16
; ScratchSize: 0
; MemoryBound: 0
; FloatMode: 240
; IeeeMode: 1
; LDSByteSize: 0 bytes/workgroup (compile time only)
; SGPRBlocks: 0
; VGPRBlocks: 0
; NumSGPRsForWavesPerEU: 21
; NumVGPRsForWavesPerEU: 16
; NamedBarCnt: 0
; Occupancy: 16
; WaveLimiterHint : 0
; COMPUTE_PGM_RSRC2:SCRATCH_EN: 0
; COMPUTE_PGM_RSRC2:USER_SGPR: 2
; COMPUTE_PGM_RSRC2:TRAP_HANDLER: 0
; COMPUTE_PGM_RSRC2:TGID_X_EN: 1
; COMPUTE_PGM_RSRC2:TGID_Y_EN: 1
; COMPUTE_PGM_RSRC2:TGID_Z_EN: 0
; COMPUTE_PGM_RSRC2:TIDIG_COMP_CNT: 1
	.section	.text._Z18surfel_render_tileIfLi256EEvPKT_iS0_iiPS0_,"axG",@progbits,_Z18surfel_render_tileIfLi256EEvPKT_iS0_iiPS0_,comdat
	.protected	_Z18surfel_render_tileIfLi256EEvPKT_iS0_iiPS0_ ; -- Begin function _Z18surfel_render_tileIfLi256EEvPKT_iS0_iiPS0_
	.globl	_Z18surfel_render_tileIfLi256EEvPKT_iS0_iiPS0_
	.p2align	8
	.type	_Z18surfel_render_tileIfLi256EEvPKT_iS0_iiPS0_,@function
_Z18surfel_render_tileIfLi256EEvPKT_iS0_iiPS0_: ; @_Z18surfel_render_tileIfLi256EEvPKT_iS0_iiPS0_
; %bb.0:
	s_clause 0x1
	s_load_b32 s2, s[0:1], 0x2c
	s_load_b128 s[4:7], s[0:1], 0x8
	s_bfe_u32 s8, ttmp6, 0x4000c
	s_bfe_u32 s9, ttmp6, 0x40010
	s_add_co_i32 s8, s8, 1
	s_add_co_i32 s9, s9, 1
	s_and_b32 s3, ttmp6, 15
	s_bfe_u32 s10, ttmp6, 0x40004
	s_mul_i32 s8, ttmp9, s8
	s_mul_i32 s9, ttmp7, s9
	s_getreg_b32 s11, hwreg(HW_REG_IB_STS2, 6, 4)
	v_and_b32_e32 v1, 0x3ff, v0
	v_bfe_u32 v0, v0, 10, 10
	s_add_co_i32 s8, s3, s8
	s_add_co_i32 s10, s10, s9
	s_wait_kmcnt 0x0
	s_lshr_b32 s9, s2, 16
	s_and_b32 s3, s2, 0xffff
	s_cmp_eq_u32 s11, 0
	s_cselect_b32 s2, ttmp9, s8
	s_cselect_b32 s8, ttmp7, s10
	v_mad_u32 v30, s2, s3, v1
	v_mad_u32 v31, s8, s9, v0
	s_delay_alu instid0(VALU_DEP_2) | instskip(NEXT) | instid1(VALU_DEP_2)
	v_cmp_gt_i32_e32 vcc_lo, s6, v30
	v_cmp_gt_i32_e64 s2, s7, v31
	s_and_b32 s2, vcc_lo, s2
	s_delay_alu instid0(SALU_CYCLE_1)
	s_and_saveexec_b32 s8, s2
	s_cbranch_execz .LBB1_15
; %bb.1:
	s_load_b64 s[8:9], s[0:1], 0x18
	s_cmp_lt_i32 s4, 1
	s_cbranch_scc1 .LBB1_13
; %bb.2:
	s_load_b64 s[10:11], s[0:1], 0x0
	s_wait_xcnt 0x0
	s_add_co_i32 s0, s6, -1
	v_mad_u32_u24 v32, v0, s3, v1
	v_cvt_f32_i32_e32 v21, v30
	s_cvt_f32_i32 s0, s0
	s_add_co_i32 s1, s7, -1
	v_cvt_f32_i32_e32 v23, v31
	v_mul_lo_u32 v33, v32, 28
	v_fmac_f32_e64 v21, s0, -0.5
	s_cvt_f32_i32 s1, s1
	v_cmp_gt_u32_e64 s0, 0x100, v32
	v_mov_b32_e32 v24, s5
	v_dual_mov_b32 v34, 0x60ad78ec :: v_dual_mov_b32 v19, 0
	v_fmac_f32_e64 v23, s1, -0.5
	v_mov_b32_e32 v25, v21
	s_mov_b32 s7, 0
	s_mov_b32 s12, s4
	s_branch .LBB1_4
.LBB1_3:                                ;   in Loop: Header=BB1_4 Depth=1
	s_addk_co_i32 s7, 0x100
	s_addk_co_i32 s12, 0xff00
	s_cmp_ge_i32 s7, s4
	s_cbranch_scc1 .LBB1_14
.LBB1_4:                                ; =>This Loop Header: Depth=1
                                        ;     Child Loop BB1_9 Depth 2
                                        ;     Child Loop BB1_12 Depth 2
	v_or_b32_e32 v0, s7, v32
	s_delay_alu instid0(VALU_DEP_1) | instskip(SKIP_1) | instid1(SALU_CYCLE_1)
	v_cmp_gt_i32_e32 vcc_lo, s4, v0
	s_and_b32 s2, s0, vcc_lo
	s_and_saveexec_b32 s1, s2
	s_cbranch_execz .LBB1_6
; %bb.5:                                ;   in Loop: Header=BB1_4 Depth=1
	v_mul_lo_u32 v18, v0, 7
	s_wait_kmcnt 0x0
	s_delay_alu instid0(VALU_DEP_1)
	v_lshl_add_u64 v[8:9], v[18:19], 2, s[10:11]
	s_clause 0x1
	global_load_b128 v[0:3], v[8:9], off
	global_load_b96 v[4:6], v[8:9], off offset:16
	s_wait_loadcnt 0x1
	ds_store_2addr_b32 v33, v0, v1 offset1:1
	ds_store_2addr_b32 v33, v2, v3 offset0:2 offset1:3
	s_wait_loadcnt 0x0
	ds_store_2addr_b32 v33, v4, v5 offset0:4 offset1:5
	ds_store_b32 v33, v6 offset:24
.LBB1_6:                                ;   in Loop: Header=BB1_4 Depth=1
	s_or_b32 exec_lo, exec_lo, s1
	s_cmp_le_i32 s4, s7
	s_wait_dscnt 0x0
	s_barrier_signal -1
	s_barrier_wait -1
	s_cbranch_scc1 .LBB1_3
; %bb.7:                                ;   in Loop: Header=BB1_4 Depth=1
	v_med3_i32 v0, s12, 1, 0x100
	s_cmp_lt_i32 s12, 4
	s_mov_b32 s13, 0
	s_delay_alu instid0(VALU_DEP_1)
	v_readfirstlane_b32 s14, v0
	s_cbranch_scc1 .LBB1_10
; %bb.8:                                ;   in Loop: Header=BB1_4 Depth=1
	s_and_b32 s13, s14, -4
	s_mov_b32 s15, 0
	s_mov_b32 s16, 0
.LBB1_9:                                ;   Parent Loop BB1_4 Depth=1
                                        ; =>  This Inner Loop Header: Depth=2
	v_mov_b32_e32 v12, s15
	s_add_co_i32 s16, s16, 4
	s_addk_co_i32 s15, 0x70
	ds_load_b128 v[0:3], v12
	ds_load_2addr_b64 v[8:11], v12 offset0:7 offset1:8
	ds_load_b96 v[16:18], v12 offset:16
	ds_load_2addr_b32 v[36:37], v12 offset0:11 offset1:12
	ds_load_2addr_b32 v[28:29], v12 offset0:7 offset1:8
	;; [unrolled: 1-line block ×3, first 2 shown]
	ds_load_b32 v35, v12 offset:52
	ds_load_b64 v[38:39], v12 offset:72
	ds_load_b128 v[4:7], v12 offset:80
	ds_load_b128 v[12:15], v12 offset:96
	s_wait_dscnt 0x9
	v_dual_mov_b32 v40, v3 :: v_dual_mov_b32 v22, v1
	v_dual_mov_b32 v20, v0 :: v_dual_mov_b32 v3, s5
	;; [unrolled: 1-line block ×3, first 2 shown]
	s_wait_dscnt 0x8
	v_mov_b32_e32 v0, v11
	s_wait_dscnt 0x7
	v_pk_mul_f32 v[44:45], v[22:23], v[16:17] op_sel_hi:[1,0]
	s_wait_dscnt 0x5
	v_dual_mov_b32 v22, v29 :: v_dual_mov_b32 v11, s5
	s_delay_alu instid0(VALU_DEP_2) | instskip(SKIP_1) | instid1(VALU_DEP_3)
	v_pk_fma_f32 v[40:41], v[20:21], v[40:41], v[44:45] op_sel_hi:[1,0,1]
	v_mov_b32_e32 v20, v28
	v_pk_mul_f32 v[44:45], v[22:23], v[36:37] op_sel_hi:[1,0]
	v_mov_b32_e32 v22, v9
	s_delay_alu instid0(VALU_DEP_4)
	v_pk_fma_f32 v[16:17], v[2:3], v[16:17], v[40:41] op_sel:[0,1,0]
	s_wait_dscnt 0x1
	v_mov_b32_e32 v2, v7
	v_pk_fma_f32 v[40:41], v[20:21], v[26:27], v[44:45] op_sel:[0,1,0]
	v_dual_mov_b32 v27, s5 :: v_dual_mov_b32 v20, v8
	v_pk_mul_f32 v[44:45], v[22:23], v[38:39] op_sel_hi:[1,0]
	v_mov_b32_e32 v22, v6
	v_div_scale_f32 v46, null, v17, v17, v16
	s_delay_alu instid0(VALU_DEP_4)
	v_pk_fma_f32 v[36:37], v[26:27], v[36:37], v[40:41] op_sel:[0,1,0]
	v_mov_b32_e32 v27, v28
	v_pk_fma_f32 v[40:41], v[20:21], v[0:1], v[44:45] op_sel_hi:[1,0,1]
	v_mov_b32_e32 v20, v5
	s_wait_dscnt 0x0
	v_pk_mul_f32 v[44:45], v[22:23], v[12:13] op_sel:[0,1]
	v_rcp_f32_e32 v0, v46
	v_div_scale_f32 v22, null, v37, v37, v36
	v_pk_fma_f32 v[38:39], v[10:11], v[38:39], v[40:41] op_sel:[0,1,0]
	s_delay_alu instid0(VALU_DEP_3) | instskip(SKIP_2) | instid1(VALU_DEP_4)
	v_pk_fma_f32 v[12:13], v[20:21], v[12:13], v[44:45] op_sel_hi:[1,0,1]
	v_div_scale_f32 v47, vcc_lo, v16, v17, v16
	v_div_scale_f32 v28, s1, v36, v37, v36
	v_div_scale_f32 v20, null, v39, v39, v38
	s_delay_alu instid0(VALU_DEP_4)
	v_pk_fma_f32 v[2:3], v[2:3], v[14:15], v[12:13] op_sel_hi:[1,0,1]
	v_fma_f32 v13, -v46, v0, 1.0
	v_mov_b32_e32 v11, v8
	v_rcp_f32_e32 v8, v22
	v_rcp_f32_e32 v14, v20
	v_div_scale_f32 v40, null, v3, v3, v2
	v_fmac_f32_e32 v0, v13, v0
	v_div_scale_f32 v12, s2, v38, v39, v38
	s_delay_alu instid0(TRANS32_DEP_2) | instskip(NEXT) | instid1(VALU_DEP_4)
	v_fma_f32 v13, -v22, v8, 1.0
	v_rcp_f32_e32 v44, v40
	v_div_scale_f32 v41, s3, v2, v3, v2
	s_delay_alu instid0(VALU_DEP_2) | instskip(SKIP_1) | instid1(VALU_DEP_1)
	v_fmac_f32_e32 v8, v13, v8
	v_fma_f32 v13, -v20, v14, 1.0
	v_dual_mul_f32 v45, v47, v0 :: v_dual_fmac_f32 v14, v13, v14
	s_delay_alu instid0(VALU_DEP_1) | instskip(NEXT) | instid1(TRANS32_DEP_1)
	v_fma_f32 v48, -v46, v45, v47
	v_fma_f32 v13, -v40, v44, 1.0
	s_delay_alu instid0(VALU_DEP_3) | instskip(NEXT) | instid1(VALU_DEP_3)
	v_mul_f32_e32 v50, v12, v14
	v_fmac_f32_e32 v45, v48, v0
	v_mul_f32_e32 v49, v28, v8
	s_delay_alu instid0(VALU_DEP_2) | instskip(NEXT) | instid1(VALU_DEP_2)
	v_dual_fmac_f32 v44, v13, v44 :: v_dual_fma_f32 v13, -v46, v45, v47
	v_fma_f32 v48, -v22, v49, v28
	s_delay_alu instid0(VALU_DEP_2) | instskip(NEXT) | instid1(VALU_DEP_3)
	v_dual_fma_f32 v46, -v20, v50, v12 :: v_dual_mul_f32 v47, v41, v44
	v_div_fmas_f32 v0, v13, v0, v45
	s_delay_alu instid0(VALU_DEP_2) | instskip(SKIP_1) | instid1(VALU_DEP_2)
	v_dual_fmac_f32 v49, v48, v8 :: v_dual_fmac_f32 v50, v46, v14
	s_mov_b32 vcc_lo, s1
	v_div_fixup_f32 v0, v0, v17, v16
	s_delay_alu instid0(VALU_DEP_2) | instskip(NEXT) | instid1(VALU_DEP_2)
	v_dual_fma_f32 v13, -v22, v49, v28 :: v_dual_fma_f32 v22, -v40, v47, v41
	v_dual_fma_f32 v16, -v20, v50, v12 :: v_dual_fma_f32 v20, v23, v0, -v1
	s_delay_alu instid0(VALU_DEP_2)
	v_div_fmas_f32 v8, v13, v8, v49
	s_mov_b32 vcc_lo, s2
	v_pk_mul_f32 v[12:13], v[24:25], v[0:1] op_sel_hi:[1,0]
	v_fmac_f32_e32 v47, v22, v44
	v_div_fmas_f32 v13, v16, v14, v50
	v_div_fixup_f32 v8, v8, v37, v36
	v_pk_fma_f32 v[0:1], v[24:25], v[0:1], v[42:43] op_sel_hi:[1,0,1] neg_lo:[0,0,1] neg_hi:[0,0,1]
	s_mov_b32 vcc_lo, s3
	v_cmp_lt_f32_e64 s1, v12, v34
	s_delay_alu instid0(VALU_DEP_3) | instskip(SKIP_4) | instid1(VALU_DEP_3)
	v_fma_f32 v22, v23, v8, -v29
	v_pk_mul_f32 v[16:17], v[24:25], v[8:9] op_sel_hi:[1,0]
	v_pk_fma_f32 v[26:27], v[24:25], v[8:9], v[26:27] op_sel_hi:[1,0,1] neg_lo:[0,0,1] neg_hi:[0,0,1]
	v_div_fixup_f32 v8, v13, v39, v38
	v_pk_mul_f32 v[0:1], v[0:1], v[0:1]
	v_pk_mul_f32 v[26:27], v[26:27], v[26:27]
	s_delay_alu instid0(VALU_DEP_3) | instskip(SKIP_1) | instid1(VALU_DEP_2)
	v_pk_fma_f32 v[10:11], v[24:25], v[8:9], v[10:11] op_sel_hi:[1,0,1] neg_lo:[0,0,1] neg_hi:[0,0,1]
	v_fma_f32 v14, -v40, v47, v41
	v_pk_mul_f32 v[10:11], v[10:11], v[10:11]
	v_fma_f32 v1, v20, v20, v1
	s_delay_alu instid0(VALU_DEP_1) | instskip(NEXT) | instid1(VALU_DEP_4)
	v_dual_add_f32 v0, v0, v1 :: v_dual_fma_f32 v1, v22, v22, v27
	v_div_fmas_f32 v13, v14, v44, v47
	v_fma_f32 v14, v23, v8, -v9
	v_pk_mul_f32 v[8:9], v[24:25], v[8:9] op_sel_hi:[1,0]
	s_delay_alu instid0(VALU_DEP_4) | instskip(SKIP_3) | instid1(VALU_DEP_1)
	v_cmp_lt_f32_e32 vcc_lo, v0, v18
	v_add_f32_e32 v0, v26, v1
	v_div_fixup_f32 v2, v13, v3, v2
	s_and_b32 vcc_lo, vcc_lo, s1
	v_fma_f32 v3, v23, v2, -v6
	v_fma_f32 v6, v14, v14, v11
	s_delay_alu instid0(VALU_DEP_1) | instskip(SKIP_2) | instid1(VALU_DEP_3)
	v_add_f32_e32 v1, v10, v6
	v_cndmask_b32_e32 v6, v34, v12, vcc_lo
	v_cmp_lt_f32_e32 vcc_lo, v0, v35
	v_cmp_lt_f32_e64 s1, v1, v4
	v_mov_b32_e32 v4, v7
	s_delay_alu instid0(VALU_DEP_1) | instskip(NEXT) | instid1(VALU_DEP_1)
	v_pk_fma_f32 v[0:1], v[24:25], v[2:3], v[4:5] op_sel_hi:[1,0,1] neg_lo:[0,0,1] neg_hi:[0,0,1]
	v_pk_mul_f32 v[0:1], v[0:1], v[0:1]
	s_delay_alu instid0(VALU_DEP_1) | instskip(SKIP_2) | instid1(VALU_DEP_3)
	v_fma_f32 v1, v3, v3, v1
	v_cmp_lt_f32_e64 s2, v16, v6
	v_pk_mul_f32 v[2:3], v[24:25], v[2:3] op_sel_hi:[1,0]
	v_add_f32_e32 v0, v0, v1
	s_and_b32 vcc_lo, vcc_lo, s2
	v_cndmask_b32_e32 v4, v6, v16, vcc_lo
	s_delay_alu instid0(VALU_DEP_1) | instskip(SKIP_3) | instid1(VALU_DEP_1)
	v_cmp_lt_f32_e32 vcc_lo, v8, v4
	s_and_b32 vcc_lo, s1, vcc_lo
	v_cmp_lt_f32_e64 s1, v0, v15
	v_cndmask_b32_e32 v3, v4, v8, vcc_lo
	v_cmp_lt_f32_e32 vcc_lo, v2, v3
	s_and_b32 vcc_lo, s1, vcc_lo
	s_cmp_eq_u32 s13, s16
	v_cndmask_b32_e32 v34, v3, v2, vcc_lo
	s_cbranch_scc0 .LBB1_9
.LBB1_10:                               ;   in Loop: Header=BB1_4 Depth=1
	s_and_b32 s2, s14, 3
	s_delay_alu instid0(SALU_CYCLE_1)
	s_cmp_eq_u32 s2, 0
	s_cbranch_scc1 .LBB1_3
; %bb.11:                               ;   in Loop: Header=BB1_4 Depth=1
	s_mul_i32 s3, s13, 28
.LBB1_12:                               ;   Parent Loop BB1_4 Depth=1
                                        ; =>  This Inner Loop Header: Depth=2
	s_delay_alu instid0(SALU_CYCLE_1)
	v_mov_b32_e32 v4, s3
	s_add_co_i32 s2, s2, -1
	s_add_co_i32 s3, s3, 28
	ds_load_2addr_b32 v[0:1], v4 offset0:4 offset1:5
	ds_load_b32 v8, v4 offset:24
	ds_load_2addr_b32 v[2:3], v4 offset1:1
	ds_load_2addr_b32 v[4:5], v4 offset0:2 offset1:3
	s_wait_dscnt 0x1
	v_dual_mov_b32 v22, v3 :: v_dual_mov_b32 v20, v2
	s_delay_alu instid0(VALU_DEP_1) | instskip(SKIP_1) | instid1(VALU_DEP_1)
	v_pk_mul_f32 v[6:7], v[22:23], v[0:1] op_sel_hi:[1,0]
	s_wait_dscnt 0x0
	v_pk_fma_f32 v[6:7], v[20:21], v[4:5], v[6:7] op_sel:[0,1,0]
	v_mov_b32_e32 v5, s5
	s_delay_alu instid0(VALU_DEP_1) | instskip(NEXT) | instid1(VALU_DEP_1)
	v_pk_fma_f32 v[0:1], v[4:5], v[0:1], v[6:7] op_sel:[0,1,0]
	v_div_scale_f32 v5, null, v1, v1, v0
	v_div_scale_f32 v9, vcc_lo, v0, v1, v0
	s_delay_alu instid0(VALU_DEP_2) | instskip(SKIP_1) | instid1(TRANS32_DEP_1)
	v_rcp_f32_e32 v6, v5
	v_nop
	v_fma_f32 v7, -v5, v6, 1.0
	s_delay_alu instid0(VALU_DEP_1) | instskip(NEXT) | instid1(VALU_DEP_1)
	v_fmac_f32_e32 v6, v7, v6
	v_mul_f32_e32 v7, v9, v6
	s_delay_alu instid0(VALU_DEP_1) | instskip(NEXT) | instid1(VALU_DEP_1)
	v_fma_f32 v10, -v5, v7, v9
	v_fmac_f32_e32 v7, v10, v6
	s_delay_alu instid0(VALU_DEP_1) | instskip(NEXT) | instid1(VALU_DEP_1)
	v_fma_f32 v5, -v5, v7, v9
	v_div_fmas_f32 v6, v5, v6, v7
	v_mov_b32_e32 v5, v2
	s_delay_alu instid0(VALU_DEP_2) | instskip(NEXT) | instid1(VALU_DEP_1)
	v_div_fixup_f32 v0, v6, v1, v0
	v_pk_fma_f32 v[4:5], v[24:25], v[0:1], v[4:5] op_sel_hi:[1,0,1] neg_lo:[0,0,1] neg_hi:[0,0,1]
	v_fma_f32 v1, v23, v0, -v3
	s_delay_alu instid0(VALU_DEP_2) | instskip(NEXT) | instid1(VALU_DEP_1)
	v_pk_mul_f32 v[2:3], v[4:5], v[4:5]
	v_fma_f32 v3, v1, v1, v3
	v_pk_mul_f32 v[0:1], v[24:25], v[0:1] op_sel_hi:[1,0]
	s_delay_alu instid0(VALU_DEP_2) | instskip(NEXT) | instid1(VALU_DEP_2)
	v_add_f32_e32 v1, v2, v3
	v_cmp_lt_f32_e32 vcc_lo, v0, v34
	s_delay_alu instid0(VALU_DEP_2)
	v_cmp_lt_f32_e64 s1, v1, v8
	s_and_b32 vcc_lo, s1, vcc_lo
	s_cmp_lg_u32 s2, 0
	v_cndmask_b32_e32 v34, v34, v0, vcc_lo
	s_cbranch_scc1 .LBB1_12
	s_branch .LBB1_3
.LBB1_13:
	v_mov_b32_e32 v34, 0x60ad78ec
.LBB1_14:
	v_mad_u32 v0, v31, s6, v30
	s_delay_alu instid0(VALU_DEP_2)
	v_cmp_nlt_f32_e32 vcc_lo, 0x42c80000, v34
	v_cndmask_b32_e32 v1, 0, v34, vcc_lo
	s_wait_kmcnt 0x0
	global_store_b32 v0, v1, s[8:9] scale_offset
.LBB1_15:
	s_endpgm
	.section	.rodata,"a",@progbits
	.p2align	6, 0x0
	.amdhsa_kernel _Z18surfel_render_tileIfLi256EEvPKT_iS0_iiPS0_
		.amdhsa_group_segment_fixed_size 7168
		.amdhsa_private_segment_fixed_size 0
		.amdhsa_kernarg_size 288
		.amdhsa_user_sgpr_count 2
		.amdhsa_user_sgpr_dispatch_ptr 0
		.amdhsa_user_sgpr_queue_ptr 0
		.amdhsa_user_sgpr_kernarg_segment_ptr 1
		.amdhsa_user_sgpr_dispatch_id 0
		.amdhsa_user_sgpr_kernarg_preload_length 0
		.amdhsa_user_sgpr_kernarg_preload_offset 0
		.amdhsa_user_sgpr_private_segment_size 0
		.amdhsa_wavefront_size32 1
		.amdhsa_uses_dynamic_stack 0
		.amdhsa_enable_private_segment 0
		.amdhsa_system_sgpr_workgroup_id_x 1
		.amdhsa_system_sgpr_workgroup_id_y 1
		.amdhsa_system_sgpr_workgroup_id_z 0
		.amdhsa_system_sgpr_workgroup_info 0
		.amdhsa_system_vgpr_workitem_id 1
		.amdhsa_next_free_vgpr 51
		.amdhsa_next_free_sgpr 17
		.amdhsa_named_barrier_count 0
		.amdhsa_reserve_vcc 1
		.amdhsa_float_round_mode_32 0
		.amdhsa_float_round_mode_16_64 0
		.amdhsa_float_denorm_mode_32 3
		.amdhsa_float_denorm_mode_16_64 3
		.amdhsa_fp16_overflow 0
		.amdhsa_memory_ordered 1
		.amdhsa_forward_progress 1
		.amdhsa_inst_pref_size 15
		.amdhsa_round_robin_scheduling 0
		.amdhsa_exception_fp_ieee_invalid_op 0
		.amdhsa_exception_fp_denorm_src 0
		.amdhsa_exception_fp_ieee_div_zero 0
		.amdhsa_exception_fp_ieee_overflow 0
		.amdhsa_exception_fp_ieee_underflow 0
		.amdhsa_exception_fp_ieee_inexact 0
		.amdhsa_exception_int_div_zero 0
	.end_amdhsa_kernel
	.section	.text._Z18surfel_render_tileIfLi256EEvPKT_iS0_iiPS0_,"axG",@progbits,_Z18surfel_render_tileIfLi256EEvPKT_iS0_iiPS0_,comdat
.Lfunc_end1:
	.size	_Z18surfel_render_tileIfLi256EEvPKT_iS0_iiPS0_, .Lfunc_end1-_Z18surfel_render_tileIfLi256EEvPKT_iS0_iiPS0_
                                        ; -- End function
	.set _Z18surfel_render_tileIfLi256EEvPKT_iS0_iiPS0_.num_vgpr, 51
	.set _Z18surfel_render_tileIfLi256EEvPKT_iS0_iiPS0_.num_agpr, 0
	.set _Z18surfel_render_tileIfLi256EEvPKT_iS0_iiPS0_.numbered_sgpr, 17
	.set _Z18surfel_render_tileIfLi256EEvPKT_iS0_iiPS0_.num_named_barrier, 0
	.set _Z18surfel_render_tileIfLi256EEvPKT_iS0_iiPS0_.private_seg_size, 0
	.set _Z18surfel_render_tileIfLi256EEvPKT_iS0_iiPS0_.uses_vcc, 1
	.set _Z18surfel_render_tileIfLi256EEvPKT_iS0_iiPS0_.uses_flat_scratch, 0
	.set _Z18surfel_render_tileIfLi256EEvPKT_iS0_iiPS0_.has_dyn_sized_stack, 0
	.set _Z18surfel_render_tileIfLi256EEvPKT_iS0_iiPS0_.has_recursion, 0
	.set _Z18surfel_render_tileIfLi256EEvPKT_iS0_iiPS0_.has_indirect_call, 0
	.section	.AMDGPU.csdata,"",@progbits
; Kernel info:
; codeLenInByte = 1796
; TotalNumSgprs: 19
; NumVgprs: 51
; ScratchSize: 0
; MemoryBound: 0
; FloatMode: 240
; IeeeMode: 1
; LDSByteSize: 7168 bytes/workgroup (compile time only)
; SGPRBlocks: 0
; VGPRBlocks: 3
; NumSGPRsForWavesPerEU: 19
; NumVGPRsForWavesPerEU: 51
; NamedBarCnt: 0
; Occupancy: 16
; WaveLimiterHint : 0
; COMPUTE_PGM_RSRC2:SCRATCH_EN: 0
; COMPUTE_PGM_RSRC2:USER_SGPR: 2
; COMPUTE_PGM_RSRC2:TRAP_HANDLER: 0
; COMPUTE_PGM_RSRC2:TGID_X_EN: 1
; COMPUTE_PGM_RSRC2:TGID_Y_EN: 1
; COMPUTE_PGM_RSRC2:TGID_Z_EN: 0
; COMPUTE_PGM_RSRC2:TIDIG_COMP_CNT: 1
	.section	.AMDGPU.gpr_maximums,"",@progbits
	.set amdgpu.max_num_vgpr, 0
	.set amdgpu.max_num_agpr, 0
	.set amdgpu.max_num_sgpr, 0
	.section	.AMDGPU.csdata,"",@progbits
	.type	__hip_cuid_7eb3b975b9fde657,@object ; @__hip_cuid_7eb3b975b9fde657
	.section	.bss,"aw",@nobits
	.globl	__hip_cuid_7eb3b975b9fde657
__hip_cuid_7eb3b975b9fde657:
	.byte	0                               ; 0x0
	.size	__hip_cuid_7eb3b975b9fde657, 1

	.ident	"AMD clang version 22.0.0git (https://github.com/RadeonOpenCompute/llvm-project roc-7.2.4 26084 f58b06dce1f9c15707c5f808fd002e18c2accf7e)"
	.section	".note.GNU-stack","",@progbits
	.addrsig
	.addrsig_sym __hip_cuid_7eb3b975b9fde657
	.amdgpu_metadata
---
amdhsa.kernels:
  - .args:
      - .actual_access:  read_only
        .address_space:  global
        .offset:         0
        .size:           8
        .value_kind:     global_buffer
      - .offset:         8
        .size:           4
        .value_kind:     by_value
      - .offset:         12
        .size:           4
        .value_kind:     by_value
      - .offset:         16
        .size:           4
        .value_kind:     by_value
      - .offset:         20
        .size:           4
        .value_kind:     by_value
      - .actual_access:  write_only
        .address_space:  global
        .offset:         24
        .size:           8
        .value_kind:     global_buffer
      - .offset:         32
        .size:           4
        .value_kind:     hidden_block_count_x
      - .offset:         36
        .size:           4
        .value_kind:     hidden_block_count_y
      - .offset:         40
        .size:           4
        .value_kind:     hidden_block_count_z
      - .offset:         44
        .size:           2
        .value_kind:     hidden_group_size_x
      - .offset:         46
        .size:           2
        .value_kind:     hidden_group_size_y
      - .offset:         48
        .size:           2
        .value_kind:     hidden_group_size_z
      - .offset:         50
        .size:           2
        .value_kind:     hidden_remainder_x
      - .offset:         52
        .size:           2
        .value_kind:     hidden_remainder_y
      - .offset:         54
        .size:           2
        .value_kind:     hidden_remainder_z
      - .offset:         72
        .size:           8
        .value_kind:     hidden_global_offset_x
      - .offset:         80
        .size:           8
        .value_kind:     hidden_global_offset_y
      - .offset:         88
        .size:           8
        .value_kind:     hidden_global_offset_z
      - .offset:         96
        .size:           2
        .value_kind:     hidden_grid_dims
    .group_segment_fixed_size: 0
    .kernarg_segment_align: 8
    .kernarg_segment_size: 288
    .language:       OpenCL C
    .language_version:
      - 2
      - 0
    .max_flat_workgroup_size: 1024
    .name:           _Z13surfel_renderIfEvPKT_iS0_iiPS0_
    .private_segment_fixed_size: 0
    .sgpr_count:     21
    .sgpr_spill_count: 0
    .symbol:         _Z13surfel_renderIfEvPKT_iS0_iiPS0_.kd
    .uniform_work_group_size: 1
    .uses_dynamic_stack: false
    .vgpr_count:     16
    .vgpr_spill_count: 0
    .wavefront_size: 32
  - .args:
      - .actual_access:  read_only
        .address_space:  global
        .offset:         0
        .size:           8
        .value_kind:     global_buffer
      - .offset:         8
        .size:           4
        .value_kind:     by_value
      - .offset:         12
        .size:           4
        .value_kind:     by_value
      - .offset:         16
        .size:           4
        .value_kind:     by_value
      - .offset:         20
        .size:           4
        .value_kind:     by_value
      - .actual_access:  write_only
        .address_space:  global
        .offset:         24
        .size:           8
        .value_kind:     global_buffer
      - .offset:         32
        .size:           4
        .value_kind:     hidden_block_count_x
      - .offset:         36
        .size:           4
        .value_kind:     hidden_block_count_y
      - .offset:         40
        .size:           4
        .value_kind:     hidden_block_count_z
      - .offset:         44
        .size:           2
        .value_kind:     hidden_group_size_x
      - .offset:         46
        .size:           2
        .value_kind:     hidden_group_size_y
      - .offset:         48
        .size:           2
        .value_kind:     hidden_group_size_z
      - .offset:         50
        .size:           2
        .value_kind:     hidden_remainder_x
      - .offset:         52
        .size:           2
        .value_kind:     hidden_remainder_y
      - .offset:         54
        .size:           2
        .value_kind:     hidden_remainder_z
      - .offset:         72
        .size:           8
        .value_kind:     hidden_global_offset_x
      - .offset:         80
        .size:           8
        .value_kind:     hidden_global_offset_y
      - .offset:         88
        .size:           8
        .value_kind:     hidden_global_offset_z
      - .offset:         96
        .size:           2
        .value_kind:     hidden_grid_dims
    .group_segment_fixed_size: 7168
    .kernarg_segment_align: 8
    .kernarg_segment_size: 288
    .language:       OpenCL C
    .language_version:
      - 2
      - 0
    .max_flat_workgroup_size: 1024
    .name:           _Z18surfel_render_tileIfLi256EEvPKT_iS0_iiPS0_
    .private_segment_fixed_size: 0
    .sgpr_count:     19
    .sgpr_spill_count: 0
    .symbol:         _Z18surfel_render_tileIfLi256EEvPKT_iS0_iiPS0_.kd
    .uniform_work_group_size: 1
    .uses_dynamic_stack: false
    .vgpr_count:     51
    .vgpr_spill_count: 0
    .wavefront_size: 32
amdhsa.target:   amdgcn-amd-amdhsa--gfx1250
amdhsa.version:
  - 1
  - 2
...

	.end_amdgpu_metadata
